;; amdgpu-corpus repo=ROCm/rocFFT kind=compiled arch=gfx1030 opt=O3
	.text
	.amdgcn_target "amdgcn-amd-amdhsa--gfx1030"
	.amdhsa_code_object_version 6
	.protected	fft_rtc_fwd_len450_factors_10_5_3_3_wgs_120_tpt_30_halfLds_dp_ip_CI_unitstride_sbrr_C2R_dirReg ; -- Begin function fft_rtc_fwd_len450_factors_10_5_3_3_wgs_120_tpt_30_halfLds_dp_ip_CI_unitstride_sbrr_C2R_dirReg
	.globl	fft_rtc_fwd_len450_factors_10_5_3_3_wgs_120_tpt_30_halfLds_dp_ip_CI_unitstride_sbrr_C2R_dirReg
	.p2align	8
	.type	fft_rtc_fwd_len450_factors_10_5_3_3_wgs_120_tpt_30_halfLds_dp_ip_CI_unitstride_sbrr_C2R_dirReg,@function
fft_rtc_fwd_len450_factors_10_5_3_3_wgs_120_tpt_30_halfLds_dp_ip_CI_unitstride_sbrr_C2R_dirReg: ; @fft_rtc_fwd_len450_factors_10_5_3_3_wgs_120_tpt_30_halfLds_dp_ip_CI_unitstride_sbrr_C2R_dirReg
; %bb.0:
	s_clause 0x2
	s_load_dwordx4 s[8:11], s[4:5], 0x0
	s_load_dwordx2 s[2:3], s[4:5], 0x50
	s_load_dwordx2 s[12:13], s[4:5], 0x18
	v_mul_u32_u24_e32 v1, 0x889, v0
	v_mov_b32_e32 v3, 0
	v_lshrrev_b32_e32 v9, 16, v1
	v_mov_b32_e32 v1, 0
	v_mov_b32_e32 v6, v3
	v_mov_b32_e32 v2, 0
	v_lshl_add_u32 v5, s6, 2, v9
	s_waitcnt lgkmcnt(0)
	v_cmp_lt_u64_e64 s0, s[10:11], 2
	s_and_b32 vcc_lo, exec_lo, s0
	s_cbranch_vccnz .LBB0_8
; %bb.1:
	s_load_dwordx2 s[0:1], s[4:5], 0x10
	v_mov_b32_e32 v1, 0
	s_add_u32 s6, s12, 8
	v_mov_b32_e32 v2, 0
	s_addc_u32 s7, s13, 0
	s_mov_b64 s[16:17], 1
	s_waitcnt lgkmcnt(0)
	s_add_u32 s14, s0, 8
	s_addc_u32 s15, s1, 0
.LBB0_2:                                ; =>This Inner Loop Header: Depth=1
	s_load_dwordx2 s[18:19], s[14:15], 0x0
                                        ; implicit-def: $vgpr7_vgpr8
	s_mov_b32 s0, exec_lo
	s_waitcnt lgkmcnt(0)
	v_or_b32_e32 v4, s19, v6
	v_cmpx_ne_u64_e32 0, v[3:4]
	s_xor_b32 s1, exec_lo, s0
	s_cbranch_execz .LBB0_4
; %bb.3:                                ;   in Loop: Header=BB0_2 Depth=1
	v_cvt_f32_u32_e32 v4, s18
	v_cvt_f32_u32_e32 v7, s19
	s_sub_u32 s0, 0, s18
	s_subb_u32 s20, 0, s19
	v_fmac_f32_e32 v4, 0x4f800000, v7
	v_rcp_f32_e32 v4, v4
	v_mul_f32_e32 v4, 0x5f7ffffc, v4
	v_mul_f32_e32 v7, 0x2f800000, v4
	v_trunc_f32_e32 v7, v7
	v_fmac_f32_e32 v4, 0xcf800000, v7
	v_cvt_u32_f32_e32 v7, v7
	v_cvt_u32_f32_e32 v4, v4
	v_mul_lo_u32 v8, s0, v7
	v_mul_hi_u32 v10, s0, v4
	v_mul_lo_u32 v11, s20, v4
	v_add_nc_u32_e32 v8, v10, v8
	v_mul_lo_u32 v10, s0, v4
	v_add_nc_u32_e32 v8, v8, v11
	v_mul_hi_u32 v11, v4, v10
	v_mul_lo_u32 v12, v4, v8
	v_mul_hi_u32 v13, v4, v8
	v_mul_hi_u32 v14, v7, v10
	v_mul_lo_u32 v10, v7, v10
	v_mul_hi_u32 v15, v7, v8
	v_mul_lo_u32 v8, v7, v8
	v_add_co_u32 v11, vcc_lo, v11, v12
	v_add_co_ci_u32_e32 v12, vcc_lo, 0, v13, vcc_lo
	v_add_co_u32 v10, vcc_lo, v11, v10
	v_add_co_ci_u32_e32 v10, vcc_lo, v12, v14, vcc_lo
	v_add_co_ci_u32_e32 v11, vcc_lo, 0, v15, vcc_lo
	v_add_co_u32 v8, vcc_lo, v10, v8
	v_add_co_ci_u32_e32 v10, vcc_lo, 0, v11, vcc_lo
	v_add_co_u32 v4, vcc_lo, v4, v8
	v_add_co_ci_u32_e32 v7, vcc_lo, v7, v10, vcc_lo
	v_mul_hi_u32 v8, s0, v4
	v_mul_lo_u32 v11, s20, v4
	v_mul_lo_u32 v10, s0, v7
	v_add_nc_u32_e32 v8, v8, v10
	v_mul_lo_u32 v10, s0, v4
	v_add_nc_u32_e32 v8, v8, v11
	v_mul_hi_u32 v11, v4, v10
	v_mul_lo_u32 v12, v4, v8
	v_mul_hi_u32 v13, v4, v8
	v_mul_hi_u32 v14, v7, v10
	v_mul_lo_u32 v10, v7, v10
	v_mul_hi_u32 v15, v7, v8
	v_mul_lo_u32 v8, v7, v8
	v_add_co_u32 v11, vcc_lo, v11, v12
	v_add_co_ci_u32_e32 v12, vcc_lo, 0, v13, vcc_lo
	v_add_co_u32 v10, vcc_lo, v11, v10
	v_add_co_ci_u32_e32 v10, vcc_lo, v12, v14, vcc_lo
	v_add_co_ci_u32_e32 v11, vcc_lo, 0, v15, vcc_lo
	v_add_co_u32 v8, vcc_lo, v10, v8
	v_add_co_ci_u32_e32 v10, vcc_lo, 0, v11, vcc_lo
	v_add_co_u32 v4, vcc_lo, v4, v8
	v_add_co_ci_u32_e32 v12, vcc_lo, v7, v10, vcc_lo
	v_mul_hi_u32 v14, v5, v4
	v_mad_u64_u32 v[10:11], null, v6, v4, 0
	v_mad_u64_u32 v[7:8], null, v5, v12, 0
	;; [unrolled: 1-line block ×3, first 2 shown]
	v_add_co_u32 v4, vcc_lo, v14, v7
	v_add_co_ci_u32_e32 v7, vcc_lo, 0, v8, vcc_lo
	v_add_co_u32 v4, vcc_lo, v4, v10
	v_add_co_ci_u32_e32 v4, vcc_lo, v7, v11, vcc_lo
	v_add_co_ci_u32_e32 v7, vcc_lo, 0, v13, vcc_lo
	v_add_co_u32 v4, vcc_lo, v4, v12
	v_add_co_ci_u32_e32 v10, vcc_lo, 0, v7, vcc_lo
	v_mul_lo_u32 v11, s19, v4
	v_mad_u64_u32 v[7:8], null, s18, v4, 0
	v_mul_lo_u32 v12, s18, v10
	v_sub_co_u32 v7, vcc_lo, v5, v7
	v_add3_u32 v8, v8, v12, v11
	v_sub_nc_u32_e32 v11, v6, v8
	v_subrev_co_ci_u32_e64 v11, s0, s19, v11, vcc_lo
	v_add_co_u32 v12, s0, v4, 2
	v_add_co_ci_u32_e64 v13, s0, 0, v10, s0
	v_sub_co_u32 v14, s0, v7, s18
	v_sub_co_ci_u32_e32 v8, vcc_lo, v6, v8, vcc_lo
	v_subrev_co_ci_u32_e64 v11, s0, 0, v11, s0
	v_cmp_le_u32_e32 vcc_lo, s18, v14
	v_cmp_eq_u32_e64 s0, s19, v8
	v_cndmask_b32_e64 v14, 0, -1, vcc_lo
	v_cmp_le_u32_e32 vcc_lo, s19, v11
	v_cndmask_b32_e64 v15, 0, -1, vcc_lo
	v_cmp_le_u32_e32 vcc_lo, s18, v7
	;; [unrolled: 2-line block ×3, first 2 shown]
	v_cndmask_b32_e64 v16, 0, -1, vcc_lo
	v_cmp_eq_u32_e32 vcc_lo, s19, v11
	v_cndmask_b32_e64 v7, v16, v7, s0
	v_cndmask_b32_e32 v11, v15, v14, vcc_lo
	v_add_co_u32 v14, vcc_lo, v4, 1
	v_add_co_ci_u32_e32 v15, vcc_lo, 0, v10, vcc_lo
	v_cmp_ne_u32_e32 vcc_lo, 0, v11
	v_cndmask_b32_e32 v8, v15, v13, vcc_lo
	v_cndmask_b32_e32 v11, v14, v12, vcc_lo
	v_cmp_ne_u32_e32 vcc_lo, 0, v7
	v_cndmask_b32_e32 v8, v10, v8, vcc_lo
	v_cndmask_b32_e32 v7, v4, v11, vcc_lo
.LBB0_4:                                ;   in Loop: Header=BB0_2 Depth=1
	s_andn2_saveexec_b32 s0, s1
	s_cbranch_execz .LBB0_6
; %bb.5:                                ;   in Loop: Header=BB0_2 Depth=1
	v_cvt_f32_u32_e32 v4, s18
	s_sub_i32 s1, 0, s18
	v_rcp_iflag_f32_e32 v4, v4
	v_mul_f32_e32 v4, 0x4f7ffffe, v4
	v_cvt_u32_f32_e32 v4, v4
	v_mul_lo_u32 v7, s1, v4
	v_mul_hi_u32 v7, v4, v7
	v_add_nc_u32_e32 v4, v4, v7
	v_mul_hi_u32 v4, v5, v4
	v_mul_lo_u32 v7, v4, s18
	v_add_nc_u32_e32 v8, 1, v4
	v_sub_nc_u32_e32 v7, v5, v7
	v_subrev_nc_u32_e32 v10, s18, v7
	v_cmp_le_u32_e32 vcc_lo, s18, v7
	v_cndmask_b32_e32 v7, v7, v10, vcc_lo
	v_cndmask_b32_e32 v4, v4, v8, vcc_lo
	v_cmp_le_u32_e32 vcc_lo, s18, v7
	v_add_nc_u32_e32 v8, 1, v4
	v_cndmask_b32_e32 v7, v4, v8, vcc_lo
	v_mov_b32_e32 v8, v3
.LBB0_6:                                ;   in Loop: Header=BB0_2 Depth=1
	s_or_b32 exec_lo, exec_lo, s0
	s_load_dwordx2 s[0:1], s[6:7], 0x0
	v_mul_lo_u32 v4, v8, s18
	v_mul_lo_u32 v12, v7, s19
	v_mad_u64_u32 v[10:11], null, v7, s18, 0
	s_add_u32 s16, s16, 1
	s_addc_u32 s17, s17, 0
	s_add_u32 s6, s6, 8
	s_addc_u32 s7, s7, 0
	;; [unrolled: 2-line block ×3, first 2 shown]
	v_add3_u32 v4, v11, v12, v4
	v_sub_co_u32 v5, vcc_lo, v5, v10
	v_sub_co_ci_u32_e32 v4, vcc_lo, v6, v4, vcc_lo
	s_waitcnt lgkmcnt(0)
	v_mul_lo_u32 v6, s1, v5
	v_mul_lo_u32 v4, s0, v4
	v_mad_u64_u32 v[1:2], null, s0, v5, v[1:2]
	v_cmp_ge_u64_e64 s0, s[16:17], s[10:11]
	s_and_b32 vcc_lo, exec_lo, s0
	v_add3_u32 v2, v6, v2, v4
	s_cbranch_vccnz .LBB0_9
; %bb.7:                                ;   in Loop: Header=BB0_2 Depth=1
	v_mov_b32_e32 v5, v7
	v_mov_b32_e32 v6, v8
	s_branch .LBB0_2
.LBB0_8:
	v_mov_b32_e32 v8, v6
	v_mov_b32_e32 v7, v5
.LBB0_9:
	s_lshl_b64 s[0:1], s[10:11], 3
	v_mul_hi_u32 v3, 0x8888889, v0
	s_add_u32 s0, s12, s0
	s_addc_u32 s1, s13, s1
	v_and_b32_e32 v6, 3, v9
	s_load_dwordx2 s[0:1], s[0:1], 0x0
	s_load_dwordx2 s[4:5], s[4:5], 0x20
	v_mul_u32_u24_e32 v40, 0x1c3, v6
	v_mul_u32_u24_e32 v3, 30, v3
	v_lshlrev_b32_e32 v70, 4, v40
	v_sub_nc_u32_e32 v64, v0, v3
	s_waitcnt lgkmcnt(0)
	v_mul_lo_u32 v4, s0, v8
	v_mul_lo_u32 v5, s1, v7
	v_mad_u64_u32 v[1:2], null, s0, v7, v[1:2]
	v_cmp_gt_u64_e32 vcc_lo, s[4:5], v[7:8]
	v_add3_u32 v2, v5, v2, v4
	v_lshlrev_b64 v[66:67], 4, v[1:2]
	s_and_saveexec_b32 s1, vcc_lo
	s_cbranch_execz .LBB0_13
; %bb.10:
	v_mov_b32_e32 v65, 0
	v_add_co_u32 v0, s0, s2, v66
	v_add_co_ci_u32_e64 v1, s0, s3, v67, s0
	v_lshlrev_b64 v[2:3], 4, v[64:65]
	s_mov_b32 s4, exec_lo
	v_add_co_u32 v19, s0, v0, v2
	v_add_co_ci_u32_e64 v20, s0, v1, v3, s0
	v_lshlrev_b32_e32 v2, 4, v64
	v_add_co_u32 v35, s0, 0x800, v19
	v_add_co_ci_u32_e64 v36, s0, 0, v20, s0
	v_add_co_u32 v53, s0, 0x1000, v19
	v_add_co_ci_u32_e64 v54, s0, 0, v20, s0
	v_add_co_u32 v61, s0, 0x1800, v19
	s_clause 0x3
	global_load_dwordx4 v[3:6], v[19:20], off
	global_load_dwordx4 v[7:10], v[19:20], off offset:480
	global_load_dwordx4 v[11:14], v[19:20], off offset:960
	;; [unrolled: 1-line block ×3, first 2 shown]
	v_add_co_ci_u32_e64 v62, s0, 0, v20, s0
	s_clause 0xa
	global_load_dwordx4 v[19:22], v[19:20], off offset:1920
	global_load_dwordx4 v[23:26], v[35:36], off offset:352
	;; [unrolled: 1-line block ×11, first 2 shown]
	v_add3_u32 v2, 0, v70, v2
	s_waitcnt vmcnt(14)
	ds_write_b128 v2, v[3:6]
	s_waitcnt vmcnt(13)
	ds_write_b128 v2, v[7:10] offset:480
	s_waitcnt vmcnt(12)
	ds_write_b128 v2, v[11:14] offset:960
	;; [unrolled: 2-line block ×14, first 2 shown]
	v_cmpx_eq_u32_e32 29, v64
	s_cbranch_execz .LBB0_12
; %bb.11:
	v_add_co_u32 v0, s0, 0x1800, v0
	v_add_co_ci_u32_e64 v1, s0, 0, v1, s0
	v_mov_b32_e32 v64, 29
	global_load_dwordx4 v[3:6], v[0:1], off offset:1056
	s_waitcnt vmcnt(0)
	ds_write_b128 v2, v[3:6] offset:6736
.LBB0_12:
	s_or_b32 exec_lo, exec_lo, s4
.LBB0_13:
	s_or_b32 exec_lo, exec_lo, s1
	v_lshl_add_u32 v68, v40, 4, 0
	v_lshlrev_b32_e32 v0, 4, v64
	s_waitcnt lgkmcnt(0)
	s_barrier
	buffer_gl0_inv
	s_add_u32 s1, s8, 0x1b80
	v_add_nc_u32_e32 v69, v68, v0
	v_sub_nc_u32_e32 v10, v68, v0
	s_addc_u32 s4, s9, 0
	s_mov_b32 s5, exec_lo
	ds_read_b64 v[6:7], v69
	ds_read_b64 v[8:9], v10 offset:7200
                                        ; implicit-def: $vgpr4_vgpr5
	s_waitcnt lgkmcnt(0)
	v_add_f64 v[0:1], v[6:7], v[8:9]
	v_add_f64 v[2:3], v[6:7], -v[8:9]
	v_cmpx_ne_u32_e32 0, v64
	s_xor_b32 s5, exec_lo, s5
	s_cbranch_execz .LBB0_15
; %bb.14:
	v_mov_b32_e32 v65, 0
	v_add_f64 v[13:14], v[6:7], v[8:9]
	v_add_f64 v[15:16], v[6:7], -v[8:9]
	v_lshlrev_b64 v[0:1], 4, v[64:65]
	v_add_co_u32 v0, s0, s1, v0
	v_add_co_ci_u32_e64 v1, s0, s4, v1, s0
	global_load_dwordx4 v[2:5], v[0:1], off
	ds_read_b64 v[0:1], v10 offset:7208
	ds_read_b64 v[11:12], v69 offset:8
	s_waitcnt lgkmcnt(0)
	v_add_f64 v[6:7], v[0:1], v[11:12]
	v_add_f64 v[0:1], v[11:12], -v[0:1]
	s_waitcnt vmcnt(0)
	v_fma_f64 v[8:9], v[15:16], v[4:5], v[13:14]
	v_fma_f64 v[11:12], -v[15:16], v[4:5], v[13:14]
	v_fma_f64 v[13:14], v[6:7], v[4:5], -v[0:1]
	v_fma_f64 v[4:5], v[6:7], v[4:5], v[0:1]
	v_fma_f64 v[0:1], -v[6:7], v[2:3], v[8:9]
	v_fma_f64 v[6:7], v[6:7], v[2:3], v[11:12]
	v_fma_f64 v[8:9], v[15:16], v[2:3], v[13:14]
	;; [unrolled: 1-line block ×3, first 2 shown]
	v_mov_b32_e32 v4, v64
	v_mov_b32_e32 v5, v65
	ds_write_b128 v10, v[6:9] offset:7200
.LBB0_15:
	s_andn2_saveexec_b32 s0, s5
	s_cbranch_execz .LBB0_17
; %bb.16:
	ds_read_b128 v[4:7], v68 offset:3600
	s_waitcnt lgkmcnt(0)
	v_add_f64 v[11:12], v[4:5], v[4:5]
	v_mul_f64 v[13:14], v[6:7], -2.0
	v_mov_b32_e32 v4, 0
	v_mov_b32_e32 v5, 0
	ds_write_b128 v68, v[11:14] offset:3600
.LBB0_17:
	s_or_b32 exec_lo, exec_lo, s0
	v_lshlrev_b64 v[4:5], 4, v[4:5]
	v_add_co_u32 v27, s0, s1, v4
	v_add_co_ci_u32_e64 v28, s0, s4, v5, s0
	s_clause 0x2
	global_load_dwordx4 v[4:7], v[27:28], off offset:480
	global_load_dwordx4 v[11:14], v[27:28], off offset:960
	;; [unrolled: 1-line block ×3, first 2 shown]
	ds_write_b128 v69, v[0:3]
	ds_read_b128 v[0:3], v69 offset:480
	ds_read_b128 v[19:22], v10 offset:6720
	global_load_dwordx4 v[23:26], v[27:28], off offset:1920
	s_waitcnt lgkmcnt(0)
	v_add_f64 v[8:9], v[0:1], v[19:20]
	v_add_f64 v[29:30], v[21:22], v[2:3]
	v_add_f64 v[0:1], v[0:1], -v[19:20]
	v_add_f64 v[2:3], v[2:3], -v[21:22]
	s_waitcnt vmcnt(3)
	v_fma_f64 v[19:20], v[0:1], v[6:7], v[8:9]
	v_fma_f64 v[21:22], v[29:30], v[6:7], v[2:3]
	v_fma_f64 v[31:32], -v[0:1], v[6:7], v[8:9]
	v_fma_f64 v[33:34], v[29:30], v[6:7], -v[2:3]
	v_fma_f64 v[6:7], -v[29:30], v[4:5], v[19:20]
	v_fma_f64 v[8:9], v[0:1], v[4:5], v[21:22]
	v_fma_f64 v[2:3], v[29:30], v[4:5], v[31:32]
	;; [unrolled: 1-line block ×3, first 2 shown]
	v_add_co_u32 v0, s0, 0x800, v27
	v_add_co_ci_u32_e64 v1, s0, 0, v28, s0
	v_cmp_gt_u32_e64 s0, 15, v64
	ds_write_b128 v69, v[6:9] offset:480
	ds_write_b128 v10, v[2:5] offset:6720
	ds_read_b128 v[2:5], v69 offset:960
	ds_read_b128 v[6:9], v10 offset:6240
	global_load_dwordx4 v[19:22], v[0:1], off offset:352
	s_waitcnt lgkmcnt(0)
	v_add_f64 v[27:28], v[2:3], v[6:7]
	v_add_f64 v[29:30], v[8:9], v[4:5]
	v_add_f64 v[31:32], v[2:3], -v[6:7]
	v_add_f64 v[2:3], v[4:5], -v[8:9]
	s_waitcnt vmcnt(3)
	v_fma_f64 v[4:5], v[31:32], v[13:14], v[27:28]
	v_fma_f64 v[6:7], v[29:30], v[13:14], v[2:3]
	v_fma_f64 v[8:9], -v[31:32], v[13:14], v[27:28]
	v_fma_f64 v[13:14], v[29:30], v[13:14], -v[2:3]
	v_fma_f64 v[2:3], -v[29:30], v[11:12], v[4:5]
	v_fma_f64 v[4:5], v[31:32], v[11:12], v[6:7]
	v_fma_f64 v[6:7], v[29:30], v[11:12], v[8:9]
	;; [unrolled: 1-line block ×3, first 2 shown]
	ds_write_b128 v69, v[2:5] offset:960
	ds_write_b128 v10, v[6:9] offset:6240
	ds_read_b128 v[2:5], v69 offset:1440
	ds_read_b128 v[6:9], v10 offset:5760
	global_load_dwordx4 v[11:14], v[0:1], off offset:832
	s_waitcnt lgkmcnt(0)
	v_add_f64 v[27:28], v[2:3], v[6:7]
	v_add_f64 v[29:30], v[8:9], v[4:5]
	v_add_f64 v[31:32], v[2:3], -v[6:7]
	v_add_f64 v[2:3], v[4:5], -v[8:9]
	s_waitcnt vmcnt(3)
	v_fma_f64 v[4:5], v[31:32], v[17:18], v[27:28]
	v_fma_f64 v[6:7], v[29:30], v[17:18], v[2:3]
	v_fma_f64 v[8:9], -v[31:32], v[17:18], v[27:28]
	v_fma_f64 v[17:18], v[29:30], v[17:18], -v[2:3]
	v_fma_f64 v[2:3], -v[29:30], v[15:16], v[4:5]
	v_fma_f64 v[4:5], v[31:32], v[15:16], v[6:7]
	v_fma_f64 v[6:7], v[29:30], v[15:16], v[8:9]
	v_fma_f64 v[8:9], v[31:32], v[15:16], v[17:18]
	ds_write_b128 v69, v[2:5] offset:1440
	ds_write_b128 v10, v[6:9] offset:5760
	ds_read_b128 v[2:5], v69 offset:1920
	ds_read_b128 v[6:9], v10 offset:5280
	s_waitcnt lgkmcnt(0)
	v_add_f64 v[15:16], v[2:3], v[6:7]
	v_add_f64 v[17:18], v[8:9], v[4:5]
	v_add_f64 v[27:28], v[2:3], -v[6:7]
	v_add_f64 v[2:3], v[4:5], -v[8:9]
	s_waitcnt vmcnt(2)
	v_fma_f64 v[4:5], v[27:28], v[25:26], v[15:16]
	v_fma_f64 v[6:7], v[17:18], v[25:26], v[2:3]
	v_fma_f64 v[8:9], -v[27:28], v[25:26], v[15:16]
	v_fma_f64 v[15:16], v[17:18], v[25:26], -v[2:3]
	v_fma_f64 v[2:3], -v[17:18], v[23:24], v[4:5]
	v_fma_f64 v[4:5], v[27:28], v[23:24], v[6:7]
	v_fma_f64 v[6:7], v[17:18], v[23:24], v[8:9]
	v_fma_f64 v[8:9], v[27:28], v[23:24], v[15:16]
	ds_write_b128 v69, v[2:5] offset:1920
	ds_write_b128 v10, v[6:9] offset:5280
	ds_read_b128 v[2:5], v69 offset:2400
	ds_read_b128 v[6:9], v10 offset:4800
	;; [unrolled: 18-line block ×3, first 2 shown]
	s_waitcnt lgkmcnt(0)
	v_add_f64 v[15:16], v[2:3], v[6:7]
	v_add_f64 v[17:18], v[8:9], v[4:5]
	v_add_f64 v[19:20], v[2:3], -v[6:7]
	v_add_f64 v[2:3], v[4:5], -v[8:9]
	s_waitcnt vmcnt(0)
	v_fma_f64 v[4:5], v[19:20], v[13:14], v[15:16]
	v_fma_f64 v[6:7], v[17:18], v[13:14], v[2:3]
	v_fma_f64 v[8:9], -v[19:20], v[13:14], v[15:16]
	v_fma_f64 v[13:14], v[17:18], v[13:14], -v[2:3]
	v_fma_f64 v[2:3], -v[17:18], v[11:12], v[4:5]
	v_fma_f64 v[4:5], v[19:20], v[11:12], v[6:7]
	v_fma_f64 v[6:7], v[17:18], v[11:12], v[8:9]
	;; [unrolled: 1-line block ×3, first 2 shown]
	ds_write_b128 v69, v[2:5] offset:2880
	ds_write_b128 v10, v[6:9] offset:4320
	s_and_saveexec_b32 s1, s0
	s_cbranch_execz .LBB0_19
; %bb.18:
	global_load_dwordx4 v[0:3], v[0:1], off offset:1312
	ds_read_b128 v[4:7], v69 offset:3360
	ds_read_b128 v[11:14], v10 offset:3840
	s_waitcnt lgkmcnt(0)
	v_add_f64 v[8:9], v[4:5], v[11:12]
	v_add_f64 v[15:16], v[13:14], v[6:7]
	v_add_f64 v[11:12], v[4:5], -v[11:12]
	v_add_f64 v[4:5], v[6:7], -v[13:14]
	s_waitcnt vmcnt(0)
	v_fma_f64 v[6:7], v[11:12], v[2:3], v[8:9]
	v_fma_f64 v[13:14], v[15:16], v[2:3], v[4:5]
	v_fma_f64 v[8:9], -v[11:12], v[2:3], v[8:9]
	v_fma_f64 v[17:18], v[15:16], v[2:3], -v[4:5]
	v_fma_f64 v[2:3], -v[15:16], v[0:1], v[6:7]
	v_fma_f64 v[4:5], v[11:12], v[0:1], v[13:14]
	v_fma_f64 v[6:7], v[15:16], v[0:1], v[8:9]
	;; [unrolled: 1-line block ×3, first 2 shown]
	ds_write_b128 v69, v[2:5] offset:3360
	ds_write_b128 v10, v[6:9] offset:3840
.LBB0_19:
	s_or_b32 exec_lo, exec_lo, s1
	v_lshl_add_u32 v0, v64, 4, 0
	s_waitcnt lgkmcnt(0)
	s_barrier
	buffer_gl0_inv
	v_add_nc_u32_e32 v65, v0, v70
	s_barrier
	buffer_gl0_inv
	s_mov_b32 s12, 0x134454ff
	s_mov_b32 s13, 0x3fee6f0e
	ds_read_b128 v[41:44], v65 offset:3600
	ds_read_b128 v[45:48], v65 offset:5040
	;; [unrolled: 1-line block ×8, first 2 shown]
	ds_read_b128 v[83:86], v69
	ds_read_b128 v[87:90], v65 offset:720
	ds_read_b128 v[4:7], v65 offset:480
	;; [unrolled: 1-line block ×8, first 2 shown]
	s_mov_b32 s15, 0xbfee6f0e
	s_mov_b32 s14, s12
	;; [unrolled: 1-line block ×4, first 2 shown]
	s_waitcnt lgkmcnt(15)
	v_add_f64 v[61:62], v[41:42], v[45:46]
	v_add_f64 v[95:96], v[43:44], v[47:48]
	s_waitcnt lgkmcnt(13)
	v_add_f64 v[91:92], v[51:52], v[55:56]
	v_add_f64 v[93:94], v[49:50], v[53:54]
	v_add_f64 v[109:110], v[51:52], -v[55:56]
	s_waitcnt lgkmcnt(10)
	v_add_f64 v[97:98], v[71:72], v[75:76]
	s_waitcnt lgkmcnt(9)
	v_add_f64 v[99:100], v[57:58], v[79:80]
	v_add_f64 v[101:102], v[73:74], v[77:78]
	s_waitcnt lgkmcnt(8)
	v_add_f64 v[105:106], v[83:84], v[57:58]
	;; [unrolled: 3-line block ×3, first 2 shown]
	v_add_f64 v[113:114], v[89:90], v[51:52]
	v_add_f64 v[117:118], v[43:44], -v[47:48]
	v_add_f64 v[119:120], v[41:42], -v[45:46]
	;; [unrolled: 1-line block ×5, first 2 shown]
	s_mov_b32 s11, 0xbfe2cf23
	s_mov_b32 s10, s6
	v_add_f64 v[103:104], v[59:60], v[81:82]
	v_add_f64 v[115:116], v[73:74], -v[77:78]
	v_add_f64 v[57:58], v[57:58], -v[79:80]
	v_fma_f64 v[61:62], v[61:62], -0.5, v[87:88]
	s_mov_b32 s4, 0x372fe950
	v_fma_f64 v[91:92], v[91:92], -0.5, v[89:90]
	v_fma_f64 v[87:88], v[93:94], -0.5, v[87:88]
	;; [unrolled: 1-line block ×3, first 2 shown]
	v_add_f64 v[93:94], v[49:50], -v[53:54]
	v_add_f64 v[95:96], v[49:50], -v[41:42]
	v_fma_f64 v[97:98], v[97:98], -0.5, v[83:84]
	v_fma_f64 v[83:84], v[99:100], -0.5, v[83:84]
	;; [unrolled: 1-line block ×3, first 2 shown]
	v_add_f64 v[49:50], v[41:42], -v[49:50]
	v_add_f64 v[101:102], v[43:44], -v[51:52]
	v_add_f64 v[51:52], v[51:52], -v[43:44]
	v_add_f64 v[41:42], v[111:112], v[41:42]
	v_add_f64 v[43:44], v[113:114], v[43:44]
	v_add_f64 v[111:112], v[53:54], -v[45:46]
	v_add_f64 v[113:114], v[45:46], -v[53:54]
	v_add_f64 v[71:72], v[105:106], v[71:72]
	v_add_f64 v[105:106], v[107:108], v[73:74]
	v_add_f64 v[107:108], v[47:48], -v[55:56]
	v_fma_f64 v[85:86], v[103:104], -0.5, v[85:86]
	v_add_f64 v[103:104], v[59:60], -v[73:74]
	v_add_f64 v[73:74], v[73:74], -v[59:60]
	;; [unrolled: 1-line block ×3, first 2 shown]
	s_mov_b32 s5, 0x3fd3c6ef
	s_mov_b32 s16, 0x9b97f4a8
	;; [unrolled: 1-line block ×3, first 2 shown]
	ds_read_b128 v[28:31], v65 offset:4800
	ds_read_b128 v[12:15], v65 offset:6240
	ds_read_b128 v[36:39], v65 offset:1200
	s_waitcnt lgkmcnt(0)
	s_barrier
	buffer_gl0_inv
	v_add_f64 v[41:42], v[41:42], v[45:46]
	v_add_f64 v[43:44], v[43:44], v[47:48]
	;; [unrolled: 1-line block ×3, first 2 shown]
	v_add_f64 v[111:112], v[55:56], -v[47:48]
	v_add_f64 v[49:50], v[49:50], v[113:114]
	v_fma_f64 v[113:114], v[117:118], s[14:15], v[87:88]
	v_fma_f64 v[87:88], v[117:118], s[12:13], v[87:88]
	v_add_f64 v[101:102], v[101:102], v[107:108]
	v_fma_f64 v[107:108], v[119:120], s[12:13], v[91:92]
	v_fma_f64 v[91:92], v[119:120], s[14:15], v[91:92]
	v_add_f64 v[71:72], v[71:72], v[75:76]
	v_add_f64 v[53:54], v[41:42], v[53:54]
	;; [unrolled: 1-line block ×3, first 2 shown]
	v_mul_u32_u24_e32 v41, 10, v64
	v_add_f64 v[51:52], v[51:52], v[111:112]
	v_fma_f64 v[111:112], v[109:110], s[12:13], v[61:62]
	v_fma_f64 v[61:62], v[109:110], s[14:15], v[61:62]
	;; [unrolled: 1-line block ×8, first 2 shown]
	v_add_f64 v[93:94], v[79:80], -v[75:76]
	v_add_f64 v[71:72], v[71:72], v[79:80]
	v_lshl_add_u32 v41, v41, 4, 0
	v_fma_f64 v[111:112], v[117:118], s[6:7], v[111:112]
	v_fma_f64 v[61:62], v[117:118], s[10:11], v[61:62]
	;; [unrolled: 1-line block ×8, first 2 shown]
	v_add_f64 v[93:94], v[121:122], v[93:94]
	v_add_f64 v[121:122], v[81:82], -v[77:78]
	v_fma_f64 v[87:88], v[115:116], s[14:15], v[83:84]
	v_fma_f64 v[107:108], v[101:102], s[4:5], v[107:108]
	;; [unrolled: 1-line block ×8, first 2 shown]
	v_add_f64 v[42:43], v[71:72], v[53:54]
	v_fma_f64 v[111:112], v[95:96], s[4:5], v[111:112]
	v_fma_f64 v[61:62], v[95:96], s[4:5], v[61:62]
	;; [unrolled: 1-line block ×6, first 2 shown]
	v_add_f64 v[103:104], v[103:104], v[121:122]
	v_add_f64 v[121:122], v[75:76], -v[79:80]
	v_add_f64 v[75:76], v[105:106], v[77:78]
	v_mul_f64 v[105:106], v[49:50], s[4:5]
	v_mul_f64 v[109:110], v[91:92], s[4:5]
	v_fma_f64 v[97:98], v[115:116], s[10:11], v[97:98]
	v_fma_f64 v[99:100], v[125:126], s[6:7], v[99:100]
	v_mul_f64 v[89:90], v[111:112], s[16:17]
	v_fma_f64 v[79:80], v[93:94], s[4:5], v[45:46]
	v_mul_f64 v[115:116], v[95:96], s[16:17]
	v_add_f64 v[121:122], v[123:124], v[121:122]
	v_add_f64 v[123:124], v[77:78], -v[81:82]
	v_fma_f64 v[77:78], v[59:60], s[6:7], v[87:88]
	v_fma_f64 v[87:88], v[57:58], s[10:11], v[101:102]
	v_mul_f64 v[101:102], v[111:112], s[10:11]
	v_fma_f64 v[59:60], v[59:60], s[10:11], v[83:84]
	v_fma_f64 v[57:58], v[57:58], s[6:7], v[85:86]
	v_mul_f64 v[83:84], v[107:108], s[12:13]
	v_mul_f64 v[85:86], v[113:114], s[14:15]
	;; [unrolled: 1-line block ×3, first 2 shown]
	v_add_f64 v[75:76], v[75:76], v[81:82]
	v_fma_f64 v[81:82], v[103:104], s[4:5], v[47:48]
	v_fma_f64 v[89:90], v[51:52], s[6:7], v[89:90]
	;; [unrolled: 1-line block ×4, first 2 shown]
	v_add_f64 v[46:47], v[71:72], -v[53:54]
	v_fma_f64 v[62:63], v[61:62], s[10:11], -v[115:116]
	v_add_f64 v[73:74], v[73:74], v[123:124]
	v_fma_f64 v[77:78], v[121:122], s[4:5], v[77:78]
	v_fma_f64 v[101:102], v[51:52], s[16:17], v[101:102]
	;; [unrolled: 1-line block ×3, first 2 shown]
	v_fma_f64 v[95:96], v[95:96], s[6:7], -v[111:112]
	v_add_f64 v[44:45], v[75:76], v[55:56]
	v_fma_f64 v[87:88], v[73:74], s[4:5], v[87:88]
	v_fma_f64 v[119:120], v[73:74], s[4:5], v[57:58]
	;; [unrolled: 1-line block ×4, first 2 shown]
	v_fma_f64 v[85:86], v[91:92], s[12:13], -v[105:106]
	v_fma_f64 v[91:92], v[49:50], s[14:15], -v[109:110]
	v_add_f64 v[48:49], v[75:76], -v[55:56]
	v_add_f64 v[50:51], v[79:80], v[89:90]
	v_add_f64 v[52:53], v[81:82], v[101:102]
	v_add_f64 v[54:55], v[79:80], -v[89:90]
	v_add_f64 v[56:57], v[81:82], -v[101:102]
	v_add_f64 v[79:80], v[93:94], v[95:96]
	v_add_f64 v[81:82], v[97:98], v[62:63]
	v_add_f64 v[89:90], v[97:98], -v[62:63]
	v_add_nc_u32_e32 v62, v41, v70
	v_add_f64 v[58:59], v[77:78], v[73:74]
	v_add_f64 v[60:61], v[87:88], v[83:84]
	v_add_f64 v[71:72], v[77:78], -v[73:74]
	v_add_f64 v[75:76], v[117:118], v[85:86]
	v_add_f64 v[77:78], v[119:120], v[91:92]
	v_add_f64 v[73:74], v[87:88], -v[83:84]
	v_add_f64 v[83:84], v[117:118], -v[85:86]
	;; [unrolled: 1-line block ×4, first 2 shown]
	ds_write_b128 v62, v[42:45]
	ds_write_b128 v62, v[46:49] offset:80
	ds_write_b128 v62, v[50:53] offset:16
	;; [unrolled: 1-line block ×9, first 2 shown]
	s_and_saveexec_b32 s1, s0
	s_cbranch_execz .LBB0_21
; %bb.20:
	v_add_f64 v[42:43], v[26:27], v[22:23]
	v_add_f64 v[44:45], v[34:35], v[2:3]
	v_add_f64 v[46:47], v[32:33], v[0:1]
	v_add_f64 v[48:49], v[24:25], v[20:21]
	v_add_f64 v[50:51], v[34:35], -v[2:3]
	v_add_f64 v[52:53], v[26:27], -v[22:23]
	v_add_f64 v[54:55], v[24:25], -v[20:21]
	v_add_f64 v[56:57], v[32:33], -v[0:1]
	v_add_f64 v[73:74], v[18:19], v[30:31]
	v_add_f64 v[75:76], v[32:33], -v[24:25]
	v_add_f64 v[77:78], v[0:1], -v[20:21]
	v_add_f64 v[79:80], v[34:35], -v[26:27]
	v_add_f64 v[81:82], v[2:3], -v[22:23]
	v_add_f64 v[87:88], v[10:11], v[14:15]
	;; [unrolled: 5-line block ×3, first 2 shown]
	v_add_f64 v[105:106], v[16:17], v[28:29]
	v_add_f64 v[107:108], v[8:9], v[12:13]
	v_add_f64 v[97:98], v[6:7], v[10:11]
	v_fma_f64 v[42:43], v[42:43], -0.5, v[38:39]
	v_fma_f64 v[44:45], v[44:45], -0.5, v[38:39]
	;; [unrolled: 1-line block ×4, first 2 shown]
	v_add_f64 v[115:116], v[4:5], v[8:9]
	v_add_f64 v[32:33], v[36:37], v[32:33]
	v_add_f64 v[58:59], v[10:11], -v[18:19]
	v_add_f64 v[62:63], v[16:17], -v[28:29]
	;; [unrolled: 1-line block ×7, first 2 shown]
	v_fma_f64 v[36:37], v[73:74], -0.5, v[6:7]
	v_add_f64 v[73:74], v[75:76], v[77:78]
	v_add_f64 v[75:76], v[79:80], v[81:82]
	v_fma_f64 v[6:7], v[87:88], -0.5, v[6:7]
	v_add_f64 v[77:78], v[89:90], v[91:92]
	v_add_f64 v[79:80], v[93:94], v[95:96]
	v_fma_f64 v[91:92], v[105:106], -0.5, v[4:5]
	v_fma_f64 v[4:5], v[107:108], -0.5, v[4:5]
	v_add_f64 v[60:61], v[14:15], -v[30:31]
	v_fma_f64 v[38:39], v[56:57], s[12:13], v[42:43]
	v_fma_f64 v[99:100], v[54:55], s[14:15], v[44:45]
	;; [unrolled: 1-line block ×8, first 2 shown]
	v_add_f64 v[109:110], v[8:9], -v[16:17]
	v_add_f64 v[8:9], v[16:17], -v[8:9]
	v_add_f64 v[18:19], v[97:98], v[18:19]
	v_add_f64 v[26:27], v[34:35], v[26:27]
	;; [unrolled: 1-line block ×4, first 2 shown]
	v_add_f64 v[111:112], v[12:13], -v[28:29]
	v_fma_f64 v[32:33], v[71:72], s[12:13], v[36:37]
	v_fma_f64 v[34:35], v[62:63], s[14:15], v[6:7]
	;; [unrolled: 1-line block ×3, first 2 shown]
	v_add_f64 v[93:94], v[28:29], -v[12:13]
	v_fma_f64 v[6:7], v[62:63], s[12:13], v[6:7]
	v_lshl_add_u32 v40, v40, 4, v41
	v_add_f64 v[58:59], v[58:59], v[60:61]
	v_fma_f64 v[38:39], v[54:55], s[6:7], v[38:39]
	v_fma_f64 v[81:82], v[56:57], s[6:7], v[99:100]
	;; [unrolled: 1-line block ×7, first 2 shown]
	v_add_f64 v[50:51], v[83:84], v[85:86]
	v_fma_f64 v[42:43], v[54:55], s[10:11], v[42:43]
	v_fma_f64 v[83:84], v[10:11], s[12:13], v[91:92]
	;; [unrolled: 1-line block ×3, first 2 shown]
	v_add_f64 v[18:19], v[18:19], v[30:31]
	v_add_f64 v[22:23], v[26:27], v[22:23]
	v_add_f64 v[16:17], v[16:17], v[28:29]
	v_add_f64 v[20:21], v[24:25], v[20:21]
	v_add_f64 v[85:86], v[109:110], v[111:112]
	v_fma_f64 v[24:25], v[62:63], s[6:7], v[32:33]
	v_fma_f64 v[26:27], v[71:72], s[6:7], v[34:35]
	v_fma_f64 v[28:29], v[62:63], s[10:11], v[36:37]
	v_add_f64 v[8:9], v[8:9], v[93:94]
	v_fma_f64 v[6:7], v[71:72], s[10:11], v[6:7]
	v_fma_f64 v[38:39], v[75:76], s[4:5], v[38:39]
	v_fma_f64 v[52:53], v[79:80], s[4:5], v[81:82]
	v_fma_f64 v[54:55], v[77:78], s[4:5], v[87:88]
	v_fma_f64 v[56:57], v[73:74], s[4:5], v[89:90]
	v_fma_f64 v[81:82], v[113:114], s[12:13], v[4:5]
	v_fma_f64 v[4:5], v[113:114], s[14:15], v[4:5]
	v_fma_f64 v[44:45], v[79:80], s[4:5], v[44:45]
	v_fma_f64 v[46:47], v[77:78], s[4:5], v[46:47]
	v_fma_f64 v[48:49], v[73:74], s[4:5], v[48:49]
	v_fma_f64 v[30:31], v[75:76], s[4:5], v[42:43]
	v_fma_f64 v[60:61], v[113:114], s[10:11], v[60:61]
	v_add_f64 v[14:15], v[18:19], v[14:15]
	v_add_f64 v[18:19], v[22:23], v[2:3]
	;; [unrolled: 1-line block ×4, first 2 shown]
	v_fma_f64 v[20:21], v[58:59], s[4:5], v[24:25]
	v_fma_f64 v[24:25], v[50:51], s[4:5], v[26:27]
	;; [unrolled: 1-line block ×4, first 2 shown]
	v_mul_f64 v[32:33], v[38:39], s[16:17]
	v_mul_f64 v[34:35], v[52:53], s[4:5]
	;; [unrolled: 1-line block ×4, first 2 shown]
	v_fma_f64 v[62:63], v[10:11], s[10:11], v[81:82]
	v_fma_f64 v[4:5], v[10:11], s[6:7], v[4:5]
	;; [unrolled: 1-line block ×3, first 2 shown]
	v_mul_f64 v[56:57], v[56:57], s[16:17]
	v_mul_f64 v[71:72], v[44:45], s[12:13]
	;; [unrolled: 1-line block ×4, first 2 shown]
	v_add_f64 v[6:7], v[14:15], v[18:19]
	v_add_f64 v[2:3], v[14:15], -v[18:19]
	v_add_f64 v[0:1], v[12:13], -v[16:17]
	v_fma_f64 v[26:27], v[48:49], s[10:11], -v[32:33]
	v_fma_f64 v[32:33], v[46:47], s[14:15], -v[34:35]
	v_fma_f64 v[34:35], v[44:45], s[4:5], v[36:37]
	v_fma_f64 v[36:37], v[30:31], s[16:17], v[42:43]
	;; [unrolled: 1-line block ×7, first 2 shown]
	v_fma_f64 v[52:53], v[52:53], s[12:13], -v[73:74]
	v_fma_f64 v[42:43], v[85:86], s[4:5], v[60:61]
	v_fma_f64 v[56:57], v[38:39], s[6:7], -v[75:76]
	v_add_f64 v[4:5], v[12:13], v[16:17]
	v_add_f64 v[10:11], v[20:21], -v[26:27]
	v_add_f64 v[14:15], v[24:25], -v[32:33]
	;; [unrolled: 1-line block ×4, first 2 shown]
	v_add_f64 v[38:39], v[28:29], v[36:37]
	v_add_f64 v[30:31], v[24:25], v[32:33]
	;; [unrolled: 1-line block ×8, first 2 shown]
	v_add_f64 v[20:21], v[46:47], -v[48:49]
	v_add_f64 v[16:17], v[8:9], -v[54:55]
	;; [unrolled: 1-line block ×4, first 2 shown]
	ds_write_b128 v40, v[4:7] offset:4800
	ds_write_b128 v40, v[0:3] offset:4880
	;; [unrolled: 1-line block ×10, first 2 shown]
.LBB0_21:
	s_or_b32 exec_lo, exec_lo, s1
	v_and_b32_e32 v0, 0xff, v64
	v_add_nc_u32_e32 v71, 30, v64
	v_mov_b32_e32 v8, 6
	s_waitcnt lgkmcnt(0)
	s_barrier
	v_mul_lo_u16 v0, 0xcd, v0
	buffer_gl0_inv
	v_add_nc_u32_e32 v72, 60, v64
	v_lshrrev_b16 v75, 11, v0
	v_and_b32_e32 v10, 0xff, v72
	v_mul_lo_u16 v0, v75, 10
	v_mul_lo_u16 v10, 0xcd, v10
	v_sub_nc_u16 v73, v64, v0
	v_and_b32_e32 v0, 0xff, v71
	v_lshrrev_b16 v78, 11, v10
	v_lshlrev_b32_sdwa v9, v8, v73 dst_sel:DWORD dst_unused:UNUSED_PAD src0_sel:DWORD src1_sel:BYTE_0
	v_mul_lo_u16 v4, 0xcd, v0
	v_mul_lo_u16 v10, v78, 10
	v_and_b32_e32 v132, 0xffff, v78
	global_load_dwordx4 v[0:3], v9, s[8:9]
	v_lshrrev_b16 v77, 11, v4
	s_clause 0x2
	global_load_dwordx4 v[4:7], v9, s[8:9] offset:16
	global_load_dwordx4 v[36:39], v9, s[8:9] offset:32
	;; [unrolled: 1-line block ×3, first 2 shown]
	v_sub_nc_u16 v76, v72, v10
	v_mul_lo_u16 v11, v77, 10
	v_and_b32_e32 v131, 0xffff, v77
	v_mad_u32_u24 v138, 0x320, v132, 0
	v_sub_nc_u16 v74, v71, v11
	v_mad_u32_u24 v137, 0x320, v131, 0
	v_lshlrev_b32_sdwa v9, v8, v74 dst_sel:DWORD dst_unused:UNUSED_PAD src0_sel:DWORD src1_sel:BYTE_0
	v_lshlrev_b32_sdwa v8, v8, v76 dst_sel:DWORD dst_unused:UNUSED_PAD src0_sel:DWORD src1_sel:BYTE_0
	s_clause 0x7
	global_load_dwordx4 v[28:31], v9, s[8:9]
	global_load_dwordx4 v[24:27], v9, s[8:9] offset:16
	global_load_dwordx4 v[20:23], v9, s[8:9] offset:32
	;; [unrolled: 1-line block ×3, first 2 shown]
	global_load_dwordx4 v[44:47], v8, s[8:9]
	global_load_dwordx4 v[40:43], v8, s[8:9] offset:16
	global_load_dwordx4 v[12:15], v8, s[8:9] offset:32
	;; [unrolled: 1-line block ×3, first 2 shown]
	ds_read_b128 v[60:63], v65 offset:1440
	ds_read_b128 v[56:59], v65 offset:2880
	;; [unrolled: 1-line block ×11, first 2 shown]
	s_waitcnt vmcnt(11) lgkmcnt(10)
	v_mul_f64 v[107:108], v[62:63], v[2:3]
	v_mul_f64 v[2:3], v[60:61], v[2:3]
	s_waitcnt vmcnt(10) lgkmcnt(9)
	v_mul_f64 v[109:110], v[58:59], v[6:7]
	v_mul_f64 v[6:7], v[56:57], v[6:7]
	;; [unrolled: 3-line block ×4, first 2 shown]
	s_waitcnt vmcnt(5) lgkmcnt(3)
	v_mul_f64 v[115:116], v[93:94], v[22:23]
	v_fma_f64 v[60:61], v[60:61], v[0:1], -v[107:108]
	v_mul_f64 v[107:108], v[85:86], v[30:31]
	v_mul_f64 v[30:31], v[83:84], v[30:31]
	v_fma_f64 v[62:63], v[62:63], v[0:1], v[2:3]
	ds_read_b128 v[0:3], v65 offset:5280
	v_fma_f64 v[56:57], v[56:57], v[4:5], -v[109:110]
	v_fma_f64 v[58:59], v[58:59], v[4:5], v[6:7]
	ds_read_b128 v[4:7], v65 offset:6720
	v_mul_f64 v[109:110], v[89:90], v[26:27]
	v_mul_f64 v[26:27], v[87:88], v[26:27]
	v_fma_f64 v[48:49], v[48:49], v[36:37], -v[111:112]
	v_fma_f64 v[36:37], v[50:51], v[36:37], v[38:39]
	v_mul_f64 v[38:39], v[91:92], v[22:23]
	s_waitcnt vmcnt(4) lgkmcnt(3)
	v_mul_f64 v[50:51], v[101:102], v[18:19]
	v_mul_f64 v[18:19], v[99:100], v[18:19]
	s_waitcnt vmcnt(3) lgkmcnt(2)
	v_mul_f64 v[111:112], v[105:106], v[46:47]
	v_fma_f64 v[52:53], v[52:53], v[32:33], -v[113:114]
	v_fma_f64 v[32:33], v[54:55], v[32:33], v[34:35]
	v_mul_f64 v[34:35], v[103:104], v[46:47]
	s_waitcnt vmcnt(2)
	v_mul_f64 v[46:47], v[97:98], v[42:43]
	v_mul_f64 v[54:55], v[95:96], v[42:43]
	v_lshlrev_b32_e32 v42, 1, v64
	v_mov_b32_e32 v43, 0
	v_fma_f64 v[83:84], v[83:84], v[28:29], -v[107:108]
	s_waitcnt vmcnt(1) lgkmcnt(1)
	v_mul_f64 v[113:114], v[2:3], v[14:15]
	v_fma_f64 v[28:29], v[85:86], v[28:29], v[30:31]
	v_mul_f64 v[14:15], v[0:1], v[14:15]
	s_waitcnt vmcnt(0) lgkmcnt(0)
	v_mul_f64 v[30:31], v[6:7], v[10:11]
	v_mul_f64 v[10:11], v[4:5], v[10:11]
	v_add_f64 v[117:118], v[62:63], -v[58:59]
	v_fma_f64 v[85:86], v[87:88], v[24:25], -v[109:110]
	v_fma_f64 v[26:27], v[89:90], v[24:25], v[26:27]
	v_fma_f64 v[89:90], v[91:92], v[20:21], -v[115:116]
	v_lshlrev_b64 v[87:88], 4, v[42:43]
	v_fma_f64 v[20:21], v[93:94], v[20:21], v[38:39]
	v_fma_f64 v[38:39], v[99:100], v[16:17], -v[50:51]
	v_fma_f64 v[16:17], v[101:102], v[16:17], v[18:19]
	v_fma_f64 v[18:19], v[103:104], v[44:45], -v[111:112]
	v_add_f64 v[93:94], v[60:61], -v[56:57]
	v_add_f64 v[103:104], v[52:53], -v[48:49]
	v_fma_f64 v[34:35], v[105:106], v[44:45], v[34:35]
	v_fma_f64 v[45:46], v[95:96], v[40:41], -v[46:47]
	v_fma_f64 v[50:51], v[97:98], v[40:41], v[54:55]
	v_add_co_u32 v40, s0, s8, v87
	v_add_co_ci_u32_e64 v41, s0, s9, v88, s0
	v_fma_f64 v[54:55], v[0:1], v[12:13], -v[113:114]
	v_add_f64 v[87:88], v[62:63], v[32:33]
	v_fma_f64 v[30:31], v[4:5], v[8:9], -v[30:31]
	v_fma_f64 v[4:5], v[2:3], v[12:13], v[14:15]
	v_fma_f64 v[10:11], v[6:7], v[8:9], v[10:11]
	v_add_f64 v[8:9], v[56:57], v[48:49]
	v_add_f64 v[12:13], v[60:61], v[52:53]
	;; [unrolled: 1-line block ×7, first 2 shown]
	v_add_f64 v[105:106], v[56:57], -v[60:61]
	v_add_f64 v[115:116], v[48:49], -v[52:53]
	;; [unrolled: 1-line block ×3, first 2 shown]
	ds_read_b128 v[22:25], v69
	ds_read_b128 v[0:3], v65 offset:480
	v_add_f64 v[121:122], v[58:59], -v[62:63]
	v_add_f64 v[123:124], v[36:37], -v[32:33]
	v_add_f64 v[93:94], v[93:94], v[103:104]
	v_add_f64 v[103:104], v[38:39], -v[89:90]
	v_and_b32_e32 v47, 0xffff, v75
	v_add_f64 v[107:108], v[45:46], v[54:55]
	v_mov_b32_e32 v44, 4
	v_add_f64 v[109:110], v[18:19], v[30:31]
	v_add_f64 v[111:112], v[50:51], v[4:5]
	;; [unrolled: 1-line block ×3, first 2 shown]
	v_mad_u32_u24 v75, 0x320, v47, 0
	v_add_f64 v[77:78], v[83:84], -v[38:39]
	v_lshlrev_b32_sdwa v73, v44, v73 dst_sel:DWORD dst_unused:UNUSED_PAD src0_sel:DWORD src1_sel:BYTE_0
	v_cmp_gt_u32_e64 s0, 20, v64
	s_waitcnt lgkmcnt(0)
	s_barrier
	buffer_gl0_inv
	v_add3_u32 v73, v75, v73, v70
	v_add_f64 v[6:7], v[22:23], v[60:61]
	v_add_f64 v[91:92], v[24:25], v[62:63]
	;; [unrolled: 1-line block ×3, first 2 shown]
	v_fma_f64 v[8:9], v[8:9], -0.5, v[22:23]
	v_fma_f64 v[12:13], v[12:13], -0.5, v[22:23]
	;; [unrolled: 1-line block ×4, first 2 shown]
	v_add_f64 v[24:25], v[0:1], v[83:84]
	v_add_f64 v[87:88], v[83:84], -v[85:86]
	v_fma_f64 v[95:96], v[95:96], -0.5, v[0:1]
	v_fma_f64 v[97:98], v[97:98], -0.5, v[0:1]
	;; [unrolled: 1-line block ×4, first 2 shown]
	v_add_f64 v[0:1], v[28:29], -v[26:27]
	v_add_f64 v[2:3], v[79:80], v[18:19]
	v_fma_f64 v[107:108], v[107:108], -0.5, v[79:80]
	v_fma_f64 v[79:80], v[109:110], -0.5, v[79:80]
	;; [unrolled: 1-line block ×4, first 2 shown]
	v_add_f64 v[113:114], v[85:86], -v[83:84]
	v_add_f64 v[105:106], v[105:106], v[115:116]
	v_add_f64 v[115:116], v[89:90], -v[38:39]
	v_add_f64 v[117:118], v[117:118], v[119:120]
	;; [unrolled: 2-line block ×4, first 2 shown]
	v_add_f64 v[125:126], v[125:126], v[26:27]
	v_add_f64 v[6:7], v[6:7], v[56:57]
	;; [unrolled: 1-line block ×4, first 2 shown]
	v_add_f64 v[103:104], v[20:21], -v[16:17]
	v_add_f64 v[58:59], v[58:59], -v[36:37]
	;; [unrolled: 1-line block ×3, first 2 shown]
	v_add_f64 v[24:25], v[24:25], v[85:86]
	v_add_f64 v[60:61], v[60:61], -v[52:53]
	v_add_f64 v[56:57], v[56:57], -v[48:49]
	;; [unrolled: 1-line block ×4, first 2 shown]
	v_add_f64 v[2:3], v[2:3], v[45:46]
	v_add_f64 v[83:84], v[85:86], -v[89:90]
	v_add_nc_u32_e32 v42, 20, v42
	v_add_f64 v[113:114], v[113:114], v[115:116]
	v_add_f64 v[115:116], v[18:19], -v[45:46]
	v_add_f64 v[119:120], v[0:1], v[119:120]
	v_add_f64 v[0:1], v[30:31], -v[54:55]
	;; [unrolled: 2-line block ×4, first 2 shown]
	v_add_f64 v[6:7], v[6:7], v[48:49]
	v_add_f64 v[103:104], v[123:124], v[103:104]
	v_add_f64 v[123:124], v[45:46], -v[18:19]
	v_add_f64 v[47:48], v[10:11], -v[4:5]
	v_subrev_nc_u32_e32 v49, 20, v64
	v_add_f64 v[81:82], v[81:82], v[50:51]
	v_add_f64 v[18:19], v[18:19], -v[30:31]
	v_add_f64 v[24:25], v[24:25], v[89:90]
	v_add_f64 v[45:46], v[45:46], -v[54:55]
	v_cndmask_b32_e64 v75, v49, v71, s0
	v_fma_f64 v[127:128], v[56:57], s[12:13], v[22:23]
	v_fma_f64 v[22:23], v[56:57], s[14:15], v[22:23]
	;; [unrolled: 1-line block ×4, first 2 shown]
	v_add_f64 v[115:116], v[115:116], v[0:1]
	v_add_f64 v[0:1], v[54:55], -v[30:31]
	v_add_f64 v[54:55], v[2:3], v[54:55]
	v_add_f64 v[2:3], v[36:37], v[32:33]
	v_fma_f64 v[32:33], v[26:27], s[14:15], v[97:98]
	v_add_f64 v[89:90], v[91:92], v[125:126]
	v_fma_f64 v[91:92], v[58:59], s[14:15], v[12:13]
	v_fma_f64 v[12:13], v[58:59], s[12:13], v[12:13]
	;; [unrolled: 1-line block ×6, first 2 shown]
	v_add_f64 v[81:82], v[81:82], v[4:5]
	v_fma_f64 v[95:96], v[26:27], s[10:11], v[95:96]
	v_add_f64 v[123:124], v[123:124], v[0:1]
	v_add_f64 v[0:1], v[34:35], -v[50:51]
	v_add_f64 v[34:35], v[34:35], -v[10:11]
	;; [unrolled: 1-line block ×3, first 2 shown]
	v_add_f64 v[4:5], v[24:25], v[38:39]
	v_fma_f64 v[91:92], v[62:63], s[6:7], v[91:92]
	v_add_f64 v[10:11], v[81:82], v[10:11]
	v_add_f64 v[85:86], v[0:1], v[47:48]
	v_fma_f64 v[47:48], v[62:63], s[12:13], v[8:9]
	v_fma_f64 v[8:9], v[62:63], s[14:15], v[8:9]
	v_add_f64 v[0:1], v[6:7], v[52:53]
	v_fma_f64 v[51:52], v[77:78], s[14:15], v[99:100]
	v_add_f64 v[6:7], v[20:21], v[16:17]
	v_fma_f64 v[16:17], v[83:84], s[12:13], v[101:102]
	v_fma_f64 v[20:21], v[83:84], s[14:15], v[101:102]
	;; [unrolled: 1-line block ×30, first 2 shown]
	v_add_f64 v[8:9], v[54:55], v[30:31]
	v_fma_f64 v[135:136], v[18:19], s[10:11], v[14:15]
	v_fma_f64 v[79:80], v[34:35], s[10:11], v[79:80]
	;; [unrolled: 1-line block ×26, first 2 shown]
	v_lshlrev_b32_sdwa v61, v44, v74 dst_sel:DWORD dst_unused:UNUSED_PAD src0_sel:DWORD src1_sel:BYTE_0
	v_lshlrev_b32_sdwa v62, v44, v76 dst_sel:DWORD dst_unused:UNUSED_PAD src0_sel:DWORD src1_sel:BYTE_0
	s_mov_b32 s4, 0xe8584caa
	s_mov_b32 s5, 0x3febb67a
	;; [unrolled: 1-line block ×3, first 2 shown]
	v_add3_u32 v61, v137, v61, v70
	v_add3_u32 v62, v138, v62, v70
	ds_write_b128 v73, v[0:3]
	ds_write_b128 v73, v[12:15] offset:160
	ds_write_b128 v73, v[20:23] offset:320
	ds_write_b128 v73, v[24:27] offset:480
	ds_write_b128 v73, v[16:19] offset:640
	ds_write_b128 v61, v[4:7]
	ds_write_b128 v61, v[28:31] offset:160
	ds_write_b128 v61, v[36:39] offset:320
	ds_write_b128 v61, v[45:48] offset:480
	ds_write_b128 v61, v[32:35] offset:640
	;; [unrolled: 5-line block ×3, first 2 shown]
	v_mov_b32_e32 v5, v43
	v_lshlrev_b32_e32 v4, 1, v75
	v_add_nc_u32_e32 v48, 0x5a, v64
	v_add_nc_u32_e32 v47, 0x78, v64
	s_waitcnt lgkmcnt(0)
	s_barrier
	v_lshlrev_b64 v[4:5], 4, v[4:5]
	v_and_b32_e32 v6, 0xff, v48
	buffer_gl0_inv
	global_load_dwordx4 v[0:3], v[40:41], off offset:640
	v_and_b32_e32 v7, 0xff, v47
	global_load_dwordx4 v[12:15], v[40:41], off offset:656
	v_add_co_u32 v4, s0, s8, v4
	v_add_co_ci_u32_e64 v5, s0, s9, v5, s0
	v_mul_lo_u16 v6, v6, 41
	v_mul_lo_u16 v8, v7, 41
	v_mov_b32_e32 v9, 5
	s_clause 0x1
	global_load_dwordx4 v[36:39], v[4:5], off offset:640
	global_load_dwordx4 v[24:27], v[4:5], off offset:656
	v_lshrrev_b16 v49, 11, v6
	v_lshlrev_b64 v[6:7], 4, v[42:43]
	v_lshrrev_b16 v8, 11, v8
	v_lshlrev_b32_e32 v51, 4, v75
	s_mov_b32 s6, s4
	v_mul_lo_u16 v10, v49, 50
	v_and_b32_e32 v49, 0xffff, v49
	v_add_co_u32 v4, s0, s8, v6
	v_mul_lo_u16 v6, v8, 50
	v_sub_nc_u16 v45, v48, v10
	v_add_co_ci_u32_e64 v5, s0, s9, v7, s0
	v_cmp_lt_u32_e64 s0, 19, v64
	v_sub_nc_u16 v46, v47, v6
	v_lshlrev_b32_sdwa v7, v9, v45 dst_sel:DWORD dst_unused:UNUSED_PAD src0_sel:DWORD src1_sel:BYTE_0
	s_clause 0x2
	global_load_dwordx4 v[32:35], v[4:5], off offset:640
	global_load_dwordx4 v[28:31], v[4:5], off offset:656
	global_load_dwordx4 v[20:23], v7, s[8:9] offset:640
	v_lshlrev_b32_sdwa v4, v9, v46 dst_sel:DWORD dst_unused:UNUSED_PAD src0_sel:DWORD src1_sel:BYTE_0
	s_clause 0x2
	global_load_dwordx4 v[16:19], v7, s[8:9] offset:656
	global_load_dwordx4 v[8:11], v4, s[8:9] offset:640
	global_load_dwordx4 v[4:7], v4, s[8:9] offset:656
	v_cndmask_b32_e64 v42, 0, 0x960, s0
	v_add_co_u32 v99, s0, 0x8c0, v40
	v_add_co_ci_u32_e64 v100, s0, 0, v41, s0
	v_add_nc_u32_e32 v50, 0, v42
	v_lshlrev_b32_e32 v42, 1, v71
	v_add_co_u32 v40, s0, 0x800, v40
	v_add_co_ci_u32_e64 v41, s0, 0, v41, s0
	v_lshlrev_b64 v[54:55], 4, v[42:43]
	v_add3_u32 v139, v50, v51, v70
	ds_read_b128 v[50:53], v65 offset:2400
	v_lshlrev_b32_e32 v42, 1, v72
	v_mad_u32_u24 v117, 0x960, v49, 0
	v_lshlrev_b32_sdwa v118, v44, v45 dst_sel:DWORD dst_unused:UNUSED_PAD src0_sel:DWORD src1_sel:BYTE_0
	v_add_co_u32 v79, s0, s8, v54
	v_add_co_ci_u32_e64 v80, s0, s9, v55, s0
	ds_read_b128 v[54:57], v65 offset:4800
	ds_read_b128 v[58:61], v65 offset:2880
	;; [unrolled: 1-line block ×4, first 2 shown]
	v_lshlrev_b64 v[62:63], 4, v[42:43]
	v_add_co_u32 v101, s0, 0x8c0, v79
	v_add_co_ci_u32_e64 v102, s0, 0, v80, s0
	v_add_co_u32 v105, s0, 0x800, v79
	v_lshlrev_b32_e32 v42, 1, v48
	v_add_co_ci_u32_e64 v106, s0, 0, v80, s0
	v_add_co_u32 v113, s0, s8, v62
	v_add_co_ci_u32_e64 v114, s0, s9, v63, s0
	v_lshlrev_b64 v[48:49], 4, v[42:43]
	v_lshlrev_b32_e32 v42, 1, v47
	v_lshlrev_b32_sdwa v119, v44, v46 dst_sel:DWORD dst_unused:UNUSED_PAD src0_sel:DWORD src1_sel:BYTE_0
	ds_read_b128 v[44:47], v65 offset:3360
	ds_read_b128 v[79:82], v65 offset:5760
	ds_read_b128 v[83:86], v65 offset:6240
	ds_read_b128 v[87:90], v65 offset:3840
	ds_read_b128 v[91:94], v65 offset:4320
	ds_read_b128 v[95:98], v65 offset:6720
	v_add3_u32 v141, v117, v118, v70
	v_lshlrev_b64 v[107:108], 4, v[42:43]
	v_add3_u32 v142, 0, v119, v70
	s_waitcnt vmcnt(9) lgkmcnt(10)
	v_mul_f64 v[103:104], v[52:53], v[2:3]
	v_mul_f64 v[2:3], v[50:51], v[2:3]
	s_waitcnt vmcnt(8) lgkmcnt(9)
	v_mul_f64 v[62:63], v[56:57], v[14:15]
	v_mul_f64 v[14:15], v[54:55], v[14:15]
	;; [unrolled: 3-line block ×3, first 2 shown]
	s_waitcnt vmcnt(6) lgkmcnt(7)
	v_mul_f64 v[111:112], v[73:74], v[26:27]
	v_fma_f64 v[50:51], v[50:51], v[0:1], -v[103:104]
	v_fma_f64 v[52:53], v[52:53], v[0:1], v[2:3]
	v_mul_f64 v[0:1], v[71:72], v[26:27]
	v_fma_f64 v[14:15], v[56:57], v[12:13], v[14:15]
	v_fma_f64 v[54:55], v[54:55], v[12:13], -v[62:63]
	v_add_co_u32 v103, s0, 0x8c0, v113
	s_waitcnt vmcnt(5) lgkmcnt(5)
	v_mul_f64 v[26:27], v[46:47], v[34:35]
	v_mul_f64 v[34:35], v[44:45], v[34:35]
	s_waitcnt vmcnt(4) lgkmcnt(4)
	v_mul_f64 v[56:57], v[81:82], v[30:31]
	v_mul_f64 v[30:31], v[79:80], v[30:31]
	;; [unrolled: 3-line block ×3, first 2 shown]
	v_fma_f64 v[58:59], v[58:59], v[36:37], -v[109:110]
	v_fma_f64 v[36:37], v[60:61], v[36:37], v[38:39]
	s_waitcnt vmcnt(2)
	v_mul_f64 v[38:39], v[85:86], v[18:19]
	v_mul_f64 v[18:19], v[83:84], v[18:19]
	s_waitcnt vmcnt(1) lgkmcnt(1)
	v_mul_f64 v[60:61], v[93:94], v[10:11]
	s_waitcnt vmcnt(0) lgkmcnt(0)
	v_mul_f64 v[109:110], v[97:98], v[6:7]
	v_fma_f64 v[71:72], v[71:72], v[24:25], -v[111:112]
	v_mul_f64 v[111:112], v[91:92], v[10:11]
	v_mul_f64 v[6:7], v[95:96], v[6:7]
	v_add_co_ci_u32_e64 v104, s0, 0, v114, s0
	v_fma_f64 v[73:74], v[73:74], v[24:25], v[0:1]
	v_add_co_u32 v113, s0, 0x800, v113
	ds_read_b128 v[0:3], v69
	ds_read_b128 v[10:13], v65 offset:480
	v_fma_f64 v[44:45], v[44:45], v[32:33], -v[26:27]
	v_fma_f64 v[32:33], v[46:47], v[32:33], v[34:35]
	v_fma_f64 v[34:35], v[79:80], v[28:29], -v[56:57]
	v_fma_f64 v[30:31], v[81:82], v[28:29], v[30:31]
	v_add_co_ci_u32_e64 v114, s0, 0, v114, s0
	v_fma_f64 v[46:47], v[87:88], v[20:21], -v[62:63]
	v_fma_f64 v[20:21], v[89:90], v[20:21], v[115:116]
	v_fma_f64 v[38:39], v[83:84], v[16:17], -v[38:39]
	v_fma_f64 v[16:17], v[85:86], v[16:17], v[18:19]
	v_add_co_u32 v42, s0, s8, v48
	v_add_co_ci_u32_e64 v140, s0, s9, v49, s0
	v_fma_f64 v[18:19], v[91:92], v[8:9], -v[60:61]
	v_fma_f64 v[48:49], v[95:96], v[4:5], -v[109:110]
	v_fma_f64 v[8:9], v[93:94], v[8:9], v[111:112]
	v_fma_f64 v[56:57], v[97:98], v[4:5], v[6:7]
	v_add_f64 v[4:5], v[50:51], v[54:55]
	v_add_f64 v[6:7], v[52:53], v[14:15]
	;; [unrolled: 1-line block ×4, first 2 shown]
	ds_read_b128 v[22:25], v65 offset:960
	ds_read_b128 v[26:29], v65 offset:1440
	v_add_f64 v[81:82], v[52:53], -v[14:15]
	s_waitcnt lgkmcnt(3)
	v_add_f64 v[52:53], v[2:3], v[52:53]
	v_add_f64 v[89:90], v[44:45], v[34:35]
	;; [unrolled: 1-line block ×4, first 2 shown]
	s_waitcnt lgkmcnt(2)
	v_add_f64 v[83:84], v[10:11], v[58:59]
	v_add_f64 v[50:51], v[50:51], -v[54:55]
	v_add_f64 v[95:96], v[46:47], v[38:39]
	v_add_f64 v[109:110], v[20:21], v[16:17]
	v_add_f64 v[85:86], v[36:37], -v[73:74]
	v_add_f64 v[36:37], v[12:13], v[36:37]
	v_add_f64 v[58:59], v[58:59], -v[71:72]
	v_add_f64 v[127:128], v[32:33], -v[30:31]
	;; [unrolled: 1-line block ×3, first 2 shown]
	v_add_f64 v[111:112], v[18:19], v[48:49]
	v_add_f64 v[133:134], v[46:47], -v[38:39]
	v_add_f64 v[117:118], v[8:9], v[56:57]
	v_fma_f64 v[121:122], v[4:5], -0.5, v[0:1]
	v_fma_f64 v[123:124], v[6:7], -0.5, v[2:3]
	s_waitcnt lgkmcnt(1)
	v_add_f64 v[87:88], v[22:23], v[44:45]
	v_add_f64 v[91:92], v[24:25], v[32:33]
	v_fma_f64 v[32:33], v[60:61], -0.5, v[10:11]
	v_fma_f64 v[44:45], v[62:63], -0.5, v[12:13]
	s_waitcnt lgkmcnt(0)
	v_add_f64 v[97:98], v[26:27], v[46:47]
	v_add_f64 v[2:3], v[52:53], v[14:15]
	v_fma_f64 v[46:47], v[89:90], -0.5, v[22:23]
	v_fma_f64 v[52:53], v[93:94], -0.5, v[24:25]
	v_add_f64 v[115:116], v[28:29], v[20:21]
	v_add_f64 v[119:120], v[75:76], v[18:19]
	v_add_f64 v[131:132], v[20:21], -v[16:17]
	v_add_f64 v[0:1], v[79:80], v[54:55]
	v_fma_f64 v[54:55], v[95:96], -0.5, v[26:27]
	v_fma_f64 v[60:61], v[109:110], -0.5, v[28:29]
	v_add_f64 v[125:126], v[77:78], v[8:9]
	v_add_f64 v[135:136], v[8:9], -v[56:57]
	v_add_f64 v[137:138], v[18:19], -v[48:49]
	v_add_f64 v[4:5], v[83:84], v[71:72]
	v_fma_f64 v[62:63], v[111:112], -0.5, v[75:76]
	v_fma_f64 v[70:71], v[117:118], -0.5, v[77:78]
	v_fma_f64 v[20:21], v[81:82], s[4:5], v[121:122]
	v_fma_f64 v[22:23], v[50:51], s[6:7], v[123:124]
	v_fma_f64 v[24:25], v[81:82], s[6:7], v[121:122]
	v_fma_f64 v[26:27], v[50:51], s[4:5], v[123:124]
	v_add_f64 v[6:7], v[36:37], v[73:74]
	v_add_f64 v[10:11], v[91:92], v[30:31]
	v_fma_f64 v[28:29], v[85:86], s[4:5], v[32:33]
	v_fma_f64 v[30:31], v[58:59], s[6:7], v[44:45]
	v_add_f64 v[8:9], v[87:88], v[34:35]
	v_fma_f64 v[32:33], v[85:86], s[6:7], v[32:33]
	v_fma_f64 v[34:35], v[58:59], s[4:5], v[44:45]
	;; [unrolled: 3-line block ×3, first 2 shown]
	v_fma_f64 v[44:45], v[127:128], s[6:7], v[46:47]
	v_fma_f64 v[46:47], v[129:130], s[4:5], v[52:53]
	v_add_f64 v[14:15], v[115:116], v[16:17]
	v_add_f64 v[16:17], v[119:120], v[48:49]
	v_fma_f64 v[48:49], v[131:132], s[4:5], v[54:55]
	v_fma_f64 v[50:51], v[133:134], s[6:7], v[60:61]
	v_fma_f64 v[52:53], v[131:132], s[6:7], v[54:55]
	v_fma_f64 v[54:55], v[133:134], s[4:5], v[60:61]
	v_add_f64 v[18:19], v[125:126], v[56:57]
	v_fma_f64 v[56:57], v[135:136], s[4:5], v[62:63]
	v_fma_f64 v[58:59], v[137:138], s[6:7], v[70:71]
	;; [unrolled: 1-line block ×4, first 2 shown]
	s_barrier
	buffer_gl0_inv
	ds_write_b128 v65, v[0:3]
	ds_write_b128 v65, v[20:23] offset:800
	ds_write_b128 v65, v[24:27] offset:1600
	ds_write_b128 v139, v[4:7]
	ds_write_b128 v139, v[28:31] offset:800
	ds_write_b128 v139, v[32:35] offset:1600
	;; [unrolled: 1-line block ×5, first 2 shown]
	ds_write_b128 v141, v[12:15]
	ds_write_b128 v141, v[48:51] offset:800
	ds_write_b128 v141, v[52:55] offset:1600
	;; [unrolled: 1-line block ×5, first 2 shown]
	s_waitcnt lgkmcnt(0)
	s_barrier
	buffer_gl0_inv
	s_clause 0x1
	global_load_dwordx4 v[0:3], v[40:41], off offset:192
	global_load_dwordx4 v[4:7], v[99:100], off offset:16
	v_add_co_u32 v70, s0, 0x8c0, v42
	v_add_co_ci_u32_e64 v71, s0, 0, v140, s0
	v_add_co_u32 v24, s0, 0x800, v42
	v_add_co_ci_u32_e64 v25, s0, 0, v140, s0
	;; [unrolled: 2-line block ×3, first 2 shown]
	s_clause 0x1
	global_load_dwordx4 v[8:11], v[105:106], off offset:192
	global_load_dwordx4 v[12:15], v[101:102], off offset:16
	v_add_co_u32 v32, s0, 0x800, v34
	v_add_co_ci_u32_e64 v33, s0, 0, v35, s0
	v_add_co_u32 v36, s0, 0x8c0, v34
	v_add_co_ci_u32_e64 v37, s0, 0, v35, s0
	s_clause 0x5
	global_load_dwordx4 v[16:19], v[113:114], off offset:192
	global_load_dwordx4 v[20:23], v[103:104], off offset:16
	;; [unrolled: 1-line block ×6, first 2 shown]
	ds_read_b128 v[44:47], v65 offset:2400
	ds_read_b128 v[48:51], v65 offset:4800
	;; [unrolled: 1-line block ×11, first 2 shown]
	s_waitcnt vmcnt(9) lgkmcnt(10)
	v_mul_f64 v[40:41], v[46:47], v[2:3]
	v_mul_f64 v[2:3], v[44:45], v[2:3]
	s_waitcnt vmcnt(8) lgkmcnt(9)
	v_mul_f64 v[94:95], v[50:51], v[6:7]
	v_mul_f64 v[6:7], v[48:49], v[6:7]
	;; [unrolled: 3-line block ×7, first 2 shown]
	s_waitcnt vmcnt(2)
	v_mul_f64 v[106:107], v[76:77], v[30:31]
	v_mul_f64 v[30:31], v[74:75], v[30:31]
	s_waitcnt vmcnt(1) lgkmcnt(2)
	v_mul_f64 v[108:109], v[84:85], v[34:35]
	v_fma_f64 v[40:41], v[44:45], v[0:1], -v[40:41]
	v_fma_f64 v[44:45], v[46:47], v[0:1], v[2:3]
	v_mul_f64 v[34:35], v[82:83], v[34:35]
	s_waitcnt vmcnt(0) lgkmcnt(0)
	v_mul_f64 v[46:47], v[92:93], v[38:39]
	v_mul_f64 v[38:39], v[90:91], v[38:39]
	v_fma_f64 v[48:49], v[48:49], v[4:5], -v[94:95]
	v_fma_f64 v[50:51], v[50:51], v[4:5], v[6:7]
	v_fma_f64 v[52:53], v[52:53], v[8:9], -v[96:97]
	v_fma_f64 v[54:55], v[54:55], v[8:9], v[10:11]
	;; [unrolled: 2-line block ×3, first 2 shown]
	ds_read_b128 v[0:3], v69
	ds_read_b128 v[4:7], v65 offset:480
	ds_read_b128 v[8:11], v65 offset:960
	ds_read_b128 v[12:15], v65 offset:1440
	v_fma_f64 v[60:61], v[60:61], v[16:17], -v[100:101]
	v_fma_f64 v[16:17], v[62:63], v[16:17], v[18:19]
	v_fma_f64 v[18:19], v[70:71], v[20:21], -v[102:103]
	v_fma_f64 v[20:21], v[72:73], v[20:21], v[22:23]
	;; [unrolled: 2-line block ×4, first 2 shown]
	v_fma_f64 v[30:31], v[82:83], v[32:33], -v[108:109]
	s_waitcnt lgkmcnt(0)
	s_barrier
	v_fma_f64 v[32:33], v[84:85], v[32:33], v[34:35]
	v_fma_f64 v[34:35], v[90:91], v[36:37], -v[46:47]
	v_fma_f64 v[36:37], v[92:93], v[36:37], v[38:39]
	v_add_f64 v[46:47], v[40:41], v[48:49]
	v_add_f64 v[62:63], v[44:45], -v[50:51]
	buffer_gl0_inv
	v_add_f64 v[69:70], v[2:3], v[44:45]
	v_add_f64 v[44:45], v[44:45], v[50:51]
	;; [unrolled: 1-line block ×4, first 2 shown]
	v_add_f64 v[75:76], v[54:55], -v[58:59]
	v_add_f64 v[77:78], v[6:7], v[54:55]
	v_add_f64 v[54:55], v[54:55], v[58:59]
	;; [unrolled: 1-line block ×3, first 2 shown]
	v_add_f64 v[83:84], v[16:17], -v[20:21]
	v_add_f64 v[90:91], v[10:11], v[16:17]
	v_add_f64 v[16:17], v[16:17], v[20:21]
	;; [unrolled: 1-line block ×7, first 2 shown]
	v_add_f64 v[98:99], v[24:25], -v[28:29]
	v_add_f64 v[100:101], v[30:31], v[34:35]
	v_add_f64 v[102:103], v[32:33], v[36:37]
	;; [unrolled: 1-line block ×3, first 2 shown]
	v_add_f64 v[104:105], v[22:23], -v[26:27]
	v_add_f64 v[22:23], v[86:87], v[30:31]
	v_add_f64 v[106:107], v[88:89], v[32:33]
	v_add_f64 v[40:41], v[40:41], -v[48:49]
	v_fma_f64 v[46:47], v[46:47], -0.5, v[0:1]
	v_add_f64 v[108:109], v[32:33], -v[36:37]
	v_fma_f64 v[32:33], v[44:45], -0.5, v[2:3]
	v_add_f64 v[52:53], v[52:53], -v[56:57]
	v_add_f64 v[110:111], v[30:31], -v[34:35]
	v_fma_f64 v[30:31], v[73:74], -0.5, v[4:5]
	v_add_f64 v[0:1], v[38:39], v[48:49]
	v_fma_f64 v[38:39], v[54:55], -0.5, v[6:7]
	v_add_f64 v[60:61], v[60:61], -v[18:19]
	v_fma_f64 v[44:45], v[81:82], -0.5, v[8:9]
	v_fma_f64 v[48:49], v[16:17], -0.5, v[10:11]
	v_add_f64 v[2:3], v[69:70], v[50:51]
	v_fma_f64 v[50:51], v[92:93], -0.5, v[12:13]
	v_fma_f64 v[54:55], v[96:97], -0.5, v[14:15]
	v_add_f64 v[6:7], v[77:78], v[58:59]
	;; [unrolled: 3-line block ×3, first 2 shown]
	v_add_f64 v[8:9], v[79:80], v[18:19]
	v_add_f64 v[10:11], v[90:91], v[20:21]
	;; [unrolled: 1-line block ×6, first 2 shown]
	v_fma_f64 v[20:21], v[62:63], s[4:5], v[46:47]
	v_fma_f64 v[22:23], v[40:41], s[6:7], v[32:33]
	;; [unrolled: 1-line block ×20, first 2 shown]
	ds_write_b128 v65, v[0:3]
	ds_write_b128 v65, v[4:7] offset:480
	ds_write_b128 v65, v[8:11] offset:960
	;; [unrolled: 1-line block ×14, first 2 shown]
	s_waitcnt lgkmcnt(0)
	s_barrier
	buffer_gl0_inv
	s_and_saveexec_b32 s0, vcc_lo
	s_cbranch_execz .LBB0_23
; %bb.22:
	v_lshl_add_u32 v26, v64, 4, v68
	v_mov_b32_e32 v65, v43
	v_add_nc_u32_e32 v42, 30, v64
	v_add_co_u32 v30, vcc_lo, s2, v66
	ds_read_b128 v[0:3], v26
	ds_read_b128 v[4:7], v26 offset:480
	v_lshlrev_b64 v[8:9], 4, v[64:65]
	v_lshlrev_b64 v[10:11], 4, v[42:43]
	v_add_nc_u32_e32 v42, 60, v64
	v_add_co_ci_u32_e32 v31, vcc_lo, s3, v67, vcc_lo
	v_add_co_u32 v8, vcc_lo, v30, v8
	v_lshlrev_b64 v[12:13], 4, v[42:43]
	v_add_co_ci_u32_e32 v9, vcc_lo, v31, v9, vcc_lo
	v_add_co_u32 v10, vcc_lo, v30, v10
	v_add_nc_u32_e32 v42, 0x5a, v64
	v_add_co_ci_u32_e32 v11, vcc_lo, v31, v11, vcc_lo
	v_add_co_u32 v18, vcc_lo, v30, v12
	v_lshlrev_b64 v[16:17], 4, v[42:43]
	s_waitcnt lgkmcnt(1)
	global_store_dwordx4 v[8:9], v[0:3], off
	s_waitcnt lgkmcnt(0)
	global_store_dwordx4 v[10:11], v[4:7], off
	v_add_nc_u32_e32 v42, 0x78, v64
	v_add_co_ci_u32_e32 v19, vcc_lo, v31, v13, vcc_lo
	ds_read_b128 v[0:3], v26 offset:960
	ds_read_b128 v[4:7], v26 offset:1440
	;; [unrolled: 1-line block ×4, first 2 shown]
	v_lshlrev_b64 v[20:21], 4, v[42:43]
	v_add_nc_u32_e32 v42, 0x96, v64
	v_add_co_u32 v16, vcc_lo, v30, v16
	v_add_co_ci_u32_e32 v17, vcc_lo, v31, v17, vcc_lo
	v_lshlrev_b64 v[22:23], 4, v[42:43]
	v_add_nc_u32_e32 v42, 0xb4, v64
	v_add_co_u32 v20, vcc_lo, v30, v20
	v_add_co_ci_u32_e32 v21, vcc_lo, v31, v21, vcc_lo
	v_add_co_u32 v22, vcc_lo, v30, v22
	v_lshlrev_b64 v[24:25], 4, v[42:43]
	v_add_nc_u32_e32 v42, 0xd2, v64
	v_add_co_ci_u32_e32 v23, vcc_lo, v31, v23, vcc_lo
	s_waitcnt lgkmcnt(3)
	global_store_dwordx4 v[18:19], v[0:3], off
	s_waitcnt lgkmcnt(2)
	global_store_dwordx4 v[16:17], v[4:7], off
	;; [unrolled: 2-line block ×4, first 2 shown]
	v_lshlrev_b64 v[16:17], 4, v[42:43]
	v_add_nc_u32_e32 v42, 0xf0, v64
	ds_read_b128 v[0:3], v26 offset:2880
	ds_read_b128 v[4:7], v26 offset:3360
	;; [unrolled: 1-line block ×4, first 2 shown]
	v_add_co_u32 v18, vcc_lo, v30, v24
	v_lshlrev_b64 v[20:21], 4, v[42:43]
	v_add_nc_u32_e32 v42, 0x10e, v64
	v_add_co_ci_u32_e32 v19, vcc_lo, v31, v25, vcc_lo
	v_add_co_u32 v16, vcc_lo, v30, v16
	v_lshlrev_b64 v[22:23], 4, v[42:43]
	v_add_nc_u32_e32 v42, 0x12c, v64
	v_add_co_ci_u32_e32 v17, vcc_lo, v31, v17, vcc_lo
	v_add_co_u32 v20, vcc_lo, v30, v20
	v_add_co_ci_u32_e32 v21, vcc_lo, v31, v21, vcc_lo
	v_lshlrev_b64 v[24:25], 4, v[42:43]
	v_add_nc_u32_e32 v42, 0x14a, v64
	v_add_co_u32 v22, vcc_lo, v30, v22
	v_add_co_ci_u32_e32 v23, vcc_lo, v31, v23, vcc_lo
	s_waitcnt lgkmcnt(3)
	global_store_dwordx4 v[18:19], v[0:3], off
	s_waitcnt lgkmcnt(2)
	global_store_dwordx4 v[16:17], v[4:7], off
	;; [unrolled: 2-line block ×4, first 2 shown]
	v_lshlrev_b64 v[8:9], 4, v[42:43]
	v_add_co_u32 v20, vcc_lo, v30, v24
	v_add_nc_u32_e32 v42, 0x168, v64
	v_add_co_ci_u32_e32 v21, vcc_lo, v31, v25, vcc_lo
	v_add_co_u32 v24, vcc_lo, v30, v8
	ds_read_b128 v[0:3], v26 offset:4800
	ds_read_b128 v[4:7], v26 offset:5280
	v_add_co_ci_u32_e32 v25, vcc_lo, v31, v9, vcc_lo
	ds_read_b128 v[8:11], v26 offset:5760
	ds_read_b128 v[12:15], v26 offset:6240
	;; [unrolled: 1-line block ×3, first 2 shown]
	v_lshlrev_b64 v[22:23], 4, v[42:43]
	v_add_nc_u32_e32 v42, 0x186, v64
	v_lshlrev_b64 v[26:27], 4, v[42:43]
	v_add_nc_u32_e32 v42, 0x1a4, v64
	v_add_co_u32 v22, vcc_lo, v30, v22
	v_add_co_ci_u32_e32 v23, vcc_lo, v31, v23, vcc_lo
	v_lshlrev_b64 v[28:29], 4, v[42:43]
	v_add_co_u32 v26, vcc_lo, v30, v26
	v_add_co_ci_u32_e32 v27, vcc_lo, v31, v27, vcc_lo
	v_add_co_u32 v28, vcc_lo, v30, v28
	v_add_co_ci_u32_e32 v29, vcc_lo, v31, v29, vcc_lo
	s_waitcnt lgkmcnt(4)
	global_store_dwordx4 v[20:21], v[0:3], off
	s_waitcnt lgkmcnt(3)
	global_store_dwordx4 v[24:25], v[4:7], off
	s_waitcnt lgkmcnt(2)
	global_store_dwordx4 v[22:23], v[8:11], off
	s_waitcnt lgkmcnt(1)
	global_store_dwordx4 v[26:27], v[12:15], off
	s_waitcnt lgkmcnt(0)
	global_store_dwordx4 v[28:29], v[16:19], off
.LBB0_23:
	s_endpgm
	.section	.rodata,"a",@progbits
	.p2align	6, 0x0
	.amdhsa_kernel fft_rtc_fwd_len450_factors_10_5_3_3_wgs_120_tpt_30_halfLds_dp_ip_CI_unitstride_sbrr_C2R_dirReg
		.amdhsa_group_segment_fixed_size 0
		.amdhsa_private_segment_fixed_size 0
		.amdhsa_kernarg_size 88
		.amdhsa_user_sgpr_count 6
		.amdhsa_user_sgpr_private_segment_buffer 1
		.amdhsa_user_sgpr_dispatch_ptr 0
		.amdhsa_user_sgpr_queue_ptr 0
		.amdhsa_user_sgpr_kernarg_segment_ptr 1
		.amdhsa_user_sgpr_dispatch_id 0
		.amdhsa_user_sgpr_flat_scratch_init 0
		.amdhsa_user_sgpr_private_segment_size 0
		.amdhsa_wavefront_size32 1
		.amdhsa_uses_dynamic_stack 0
		.amdhsa_system_sgpr_private_segment_wavefront_offset 0
		.amdhsa_system_sgpr_workgroup_id_x 1
		.amdhsa_system_sgpr_workgroup_id_y 0
		.amdhsa_system_sgpr_workgroup_id_z 0
		.amdhsa_system_sgpr_workgroup_info 0
		.amdhsa_system_vgpr_workitem_id 0
		.amdhsa_next_free_vgpr 143
		.amdhsa_next_free_sgpr 21
		.amdhsa_reserve_vcc 1
		.amdhsa_reserve_flat_scratch 0
		.amdhsa_float_round_mode_32 0
		.amdhsa_float_round_mode_16_64 0
		.amdhsa_float_denorm_mode_32 3
		.amdhsa_float_denorm_mode_16_64 3
		.amdhsa_dx10_clamp 1
		.amdhsa_ieee_mode 1
		.amdhsa_fp16_overflow 0
		.amdhsa_workgroup_processor_mode 1
		.amdhsa_memory_ordered 1
		.amdhsa_forward_progress 0
		.amdhsa_shared_vgpr_count 0
		.amdhsa_exception_fp_ieee_invalid_op 0
		.amdhsa_exception_fp_denorm_src 0
		.amdhsa_exception_fp_ieee_div_zero 0
		.amdhsa_exception_fp_ieee_overflow 0
		.amdhsa_exception_fp_ieee_underflow 0
		.amdhsa_exception_fp_ieee_inexact 0
		.amdhsa_exception_int_div_zero 0
	.end_amdhsa_kernel
	.text
.Lfunc_end0:
	.size	fft_rtc_fwd_len450_factors_10_5_3_3_wgs_120_tpt_30_halfLds_dp_ip_CI_unitstride_sbrr_C2R_dirReg, .Lfunc_end0-fft_rtc_fwd_len450_factors_10_5_3_3_wgs_120_tpt_30_halfLds_dp_ip_CI_unitstride_sbrr_C2R_dirReg
                                        ; -- End function
	.section	.AMDGPU.csdata,"",@progbits
; Kernel info:
; codeLenInByte = 12372
; NumSgprs: 23
; NumVgprs: 143
; ScratchSize: 0
; MemoryBound: 0
; FloatMode: 240
; IeeeMode: 1
; LDSByteSize: 0 bytes/workgroup (compile time only)
; SGPRBlocks: 2
; VGPRBlocks: 17
; NumSGPRsForWavesPerEU: 23
; NumVGPRsForWavesPerEU: 143
; Occupancy: 7
; WaveLimiterHint : 1
; COMPUTE_PGM_RSRC2:SCRATCH_EN: 0
; COMPUTE_PGM_RSRC2:USER_SGPR: 6
; COMPUTE_PGM_RSRC2:TRAP_HANDLER: 0
; COMPUTE_PGM_RSRC2:TGID_X_EN: 1
; COMPUTE_PGM_RSRC2:TGID_Y_EN: 0
; COMPUTE_PGM_RSRC2:TGID_Z_EN: 0
; COMPUTE_PGM_RSRC2:TIDIG_COMP_CNT: 0
	.text
	.p2alignl 6, 3214868480
	.fill 48, 4, 3214868480
	.type	__hip_cuid_982d9242002d2fa1,@object ; @__hip_cuid_982d9242002d2fa1
	.section	.bss,"aw",@nobits
	.globl	__hip_cuid_982d9242002d2fa1
__hip_cuid_982d9242002d2fa1:
	.byte	0                               ; 0x0
	.size	__hip_cuid_982d9242002d2fa1, 1

	.ident	"AMD clang version 19.0.0git (https://github.com/RadeonOpenCompute/llvm-project roc-6.4.0 25133 c7fe45cf4b819c5991fe208aaa96edf142730f1d)"
	.section	".note.GNU-stack","",@progbits
	.addrsig
	.addrsig_sym __hip_cuid_982d9242002d2fa1
	.amdgpu_metadata
---
amdhsa.kernels:
  - .args:
      - .actual_access:  read_only
        .address_space:  global
        .offset:         0
        .size:           8
        .value_kind:     global_buffer
      - .offset:         8
        .size:           8
        .value_kind:     by_value
      - .actual_access:  read_only
        .address_space:  global
        .offset:         16
        .size:           8
        .value_kind:     global_buffer
      - .actual_access:  read_only
        .address_space:  global
        .offset:         24
        .size:           8
        .value_kind:     global_buffer
      - .offset:         32
        .size:           8
        .value_kind:     by_value
      - .actual_access:  read_only
        .address_space:  global
        .offset:         40
        .size:           8
        .value_kind:     global_buffer
      - .actual_access:  read_only
        .address_space:  global
        .offset:         48
        .size:           8
        .value_kind:     global_buffer
      - .offset:         56
        .size:           4
        .value_kind:     by_value
      - .actual_access:  read_only
        .address_space:  global
        .offset:         64
        .size:           8
        .value_kind:     global_buffer
      - .actual_access:  read_only
        .address_space:  global
        .offset:         72
        .size:           8
        .value_kind:     global_buffer
      - .address_space:  global
        .offset:         80
        .size:           8
        .value_kind:     global_buffer
    .group_segment_fixed_size: 0
    .kernarg_segment_align: 8
    .kernarg_segment_size: 88
    .language:       OpenCL C
    .language_version:
      - 2
      - 0
    .max_flat_workgroup_size: 120
    .name:           fft_rtc_fwd_len450_factors_10_5_3_3_wgs_120_tpt_30_halfLds_dp_ip_CI_unitstride_sbrr_C2R_dirReg
    .private_segment_fixed_size: 0
    .sgpr_count:     23
    .sgpr_spill_count: 0
    .symbol:         fft_rtc_fwd_len450_factors_10_5_3_3_wgs_120_tpt_30_halfLds_dp_ip_CI_unitstride_sbrr_C2R_dirReg.kd
    .uniform_work_group_size: 1
    .uses_dynamic_stack: false
    .vgpr_count:     143
    .vgpr_spill_count: 0
    .wavefront_size: 32
    .workgroup_processor_mode: 1
amdhsa.target:   amdgcn-amd-amdhsa--gfx1030
amdhsa.version:
  - 1
  - 2
...

	.end_amdgpu_metadata
